;; amdgpu-corpus repo=ROCm/rocFFT kind=compiled arch=gfx906 opt=O3
	.text
	.amdgcn_target "amdgcn-amd-amdhsa--gfx906"
	.amdhsa_code_object_version 6
	.protected	fft_rtc_fwd_len1950_factors_13_5_10_3_wgs_195_tpt_195_dp_ip_CI_unitstride_sbrr_dirReg ; -- Begin function fft_rtc_fwd_len1950_factors_13_5_10_3_wgs_195_tpt_195_dp_ip_CI_unitstride_sbrr_dirReg
	.globl	fft_rtc_fwd_len1950_factors_13_5_10_3_wgs_195_tpt_195_dp_ip_CI_unitstride_sbrr_dirReg
	.p2align	8
	.type	fft_rtc_fwd_len1950_factors_13_5_10_3_wgs_195_tpt_195_dp_ip_CI_unitstride_sbrr_dirReg,@function
fft_rtc_fwd_len1950_factors_13_5_10_3_wgs_195_tpt_195_dp_ip_CI_unitstride_sbrr_dirReg: ; @fft_rtc_fwd_len1950_factors_13_5_10_3_wgs_195_tpt_195_dp_ip_CI_unitstride_sbrr_dirReg
; %bb.0:
	s_load_dwordx2 s[12:13], s[4:5], 0x50
	s_load_dwordx4 s[8:11], s[4:5], 0x0
	s_load_dwordx2 s[2:3], s[4:5], 0x18
	v_mul_u32_u24_e32 v1, 0x151, v0
	v_add_u32_sdwa v5, s6, v1 dst_sel:DWORD dst_unused:UNUSED_PAD src0_sel:DWORD src1_sel:WORD_1
	v_mov_b32_e32 v3, 0
	s_waitcnt lgkmcnt(0)
	v_cmp_lt_u64_e64 s[0:1], s[10:11], 2
	v_mov_b32_e32 v1, 0
	v_mov_b32_e32 v6, v3
	s_and_b64 vcc, exec, s[0:1]
	v_mov_b32_e32 v2, 0
	s_cbranch_vccnz .LBB0_8
; %bb.1:
	s_load_dwordx2 s[0:1], s[4:5], 0x10
	s_add_u32 s6, s2, 8
	s_addc_u32 s7, s3, 0
	v_mov_b32_e32 v1, 0
	v_mov_b32_e32 v2, 0
	s_waitcnt lgkmcnt(0)
	s_add_u32 s14, s0, 8
	s_addc_u32 s15, s1, 0
	s_mov_b64 s[16:17], 1
.LBB0_2:                                ; =>This Inner Loop Header: Depth=1
	s_load_dwordx2 s[18:19], s[14:15], 0x0
                                        ; implicit-def: $vgpr7_vgpr8
	s_waitcnt lgkmcnt(0)
	v_or_b32_e32 v4, s19, v6
	v_cmp_ne_u64_e32 vcc, 0, v[3:4]
	s_and_saveexec_b64 s[0:1], vcc
	s_xor_b64 s[20:21], exec, s[0:1]
	s_cbranch_execz .LBB0_4
; %bb.3:                                ;   in Loop: Header=BB0_2 Depth=1
	v_cvt_f32_u32_e32 v4, s18
	v_cvt_f32_u32_e32 v7, s19
	s_sub_u32 s0, 0, s18
	s_subb_u32 s1, 0, s19
	v_mac_f32_e32 v4, 0x4f800000, v7
	v_rcp_f32_e32 v4, v4
	v_mul_f32_e32 v4, 0x5f7ffffc, v4
	v_mul_f32_e32 v7, 0x2f800000, v4
	v_trunc_f32_e32 v7, v7
	v_mac_f32_e32 v4, 0xcf800000, v7
	v_cvt_u32_f32_e32 v7, v7
	v_cvt_u32_f32_e32 v4, v4
	v_mul_lo_u32 v8, s0, v7
	v_mul_hi_u32 v9, s0, v4
	v_mul_lo_u32 v11, s1, v4
	v_mul_lo_u32 v10, s0, v4
	v_add_u32_e32 v8, v9, v8
	v_add_u32_e32 v8, v8, v11
	v_mul_hi_u32 v9, v4, v10
	v_mul_lo_u32 v11, v4, v8
	v_mul_hi_u32 v13, v4, v8
	v_mul_hi_u32 v12, v7, v10
	v_mul_lo_u32 v10, v7, v10
	v_mul_hi_u32 v14, v7, v8
	v_add_co_u32_e32 v9, vcc, v9, v11
	v_addc_co_u32_e32 v11, vcc, 0, v13, vcc
	v_mul_lo_u32 v8, v7, v8
	v_add_co_u32_e32 v9, vcc, v9, v10
	v_addc_co_u32_e32 v9, vcc, v11, v12, vcc
	v_addc_co_u32_e32 v10, vcc, 0, v14, vcc
	v_add_co_u32_e32 v8, vcc, v9, v8
	v_addc_co_u32_e32 v9, vcc, 0, v10, vcc
	v_add_co_u32_e32 v4, vcc, v4, v8
	v_addc_co_u32_e32 v7, vcc, v7, v9, vcc
	v_mul_lo_u32 v8, s0, v7
	v_mul_hi_u32 v9, s0, v4
	v_mul_lo_u32 v10, s1, v4
	v_mul_lo_u32 v11, s0, v4
	v_add_u32_e32 v8, v9, v8
	v_add_u32_e32 v8, v8, v10
	v_mul_lo_u32 v12, v4, v8
	v_mul_hi_u32 v13, v4, v11
	v_mul_hi_u32 v14, v4, v8
	;; [unrolled: 1-line block ×3, first 2 shown]
	v_mul_lo_u32 v11, v7, v11
	v_mul_hi_u32 v9, v7, v8
	v_add_co_u32_e32 v12, vcc, v13, v12
	v_addc_co_u32_e32 v13, vcc, 0, v14, vcc
	v_mul_lo_u32 v8, v7, v8
	v_add_co_u32_e32 v11, vcc, v12, v11
	v_addc_co_u32_e32 v10, vcc, v13, v10, vcc
	v_addc_co_u32_e32 v9, vcc, 0, v9, vcc
	v_add_co_u32_e32 v8, vcc, v10, v8
	v_addc_co_u32_e32 v9, vcc, 0, v9, vcc
	v_add_co_u32_e32 v4, vcc, v4, v8
	v_addc_co_u32_e32 v9, vcc, v7, v9, vcc
	v_mad_u64_u32 v[7:8], s[0:1], v5, v9, 0
	v_mul_hi_u32 v10, v5, v4
	v_add_co_u32_e32 v11, vcc, v10, v7
	v_addc_co_u32_e32 v12, vcc, 0, v8, vcc
	v_mad_u64_u32 v[7:8], s[0:1], v6, v4, 0
	v_mad_u64_u32 v[9:10], s[0:1], v6, v9, 0
	v_add_co_u32_e32 v4, vcc, v11, v7
	v_addc_co_u32_e32 v4, vcc, v12, v8, vcc
	v_addc_co_u32_e32 v7, vcc, 0, v10, vcc
	v_add_co_u32_e32 v4, vcc, v4, v9
	v_addc_co_u32_e32 v9, vcc, 0, v7, vcc
	v_mul_lo_u32 v10, s19, v4
	v_mul_lo_u32 v11, s18, v9
	v_mad_u64_u32 v[7:8], s[0:1], s18, v4, 0
	v_add3_u32 v8, v8, v11, v10
	v_sub_u32_e32 v10, v6, v8
	v_mov_b32_e32 v11, s19
	v_sub_co_u32_e32 v7, vcc, v5, v7
	v_subb_co_u32_e64 v10, s[0:1], v10, v11, vcc
	v_subrev_co_u32_e64 v11, s[0:1], s18, v7
	v_subbrev_co_u32_e64 v10, s[0:1], 0, v10, s[0:1]
	v_cmp_le_u32_e64 s[0:1], s19, v10
	v_cndmask_b32_e64 v12, 0, -1, s[0:1]
	v_cmp_le_u32_e64 s[0:1], s18, v11
	v_cndmask_b32_e64 v11, 0, -1, s[0:1]
	v_cmp_eq_u32_e64 s[0:1], s19, v10
	v_cndmask_b32_e64 v10, v12, v11, s[0:1]
	v_add_co_u32_e64 v11, s[0:1], 2, v4
	v_addc_co_u32_e64 v12, s[0:1], 0, v9, s[0:1]
	v_add_co_u32_e64 v13, s[0:1], 1, v4
	v_addc_co_u32_e64 v14, s[0:1], 0, v9, s[0:1]
	v_subb_co_u32_e32 v8, vcc, v6, v8, vcc
	v_cmp_ne_u32_e64 s[0:1], 0, v10
	v_cmp_le_u32_e32 vcc, s19, v8
	v_cndmask_b32_e64 v10, v14, v12, s[0:1]
	v_cndmask_b32_e64 v12, 0, -1, vcc
	v_cmp_le_u32_e32 vcc, s18, v7
	v_cndmask_b32_e64 v7, 0, -1, vcc
	v_cmp_eq_u32_e32 vcc, s19, v8
	v_cndmask_b32_e32 v7, v12, v7, vcc
	v_cmp_ne_u32_e32 vcc, 0, v7
	v_cndmask_b32_e64 v7, v13, v11, s[0:1]
	v_cndmask_b32_e32 v8, v9, v10, vcc
	v_cndmask_b32_e32 v7, v4, v7, vcc
.LBB0_4:                                ;   in Loop: Header=BB0_2 Depth=1
	s_andn2_saveexec_b64 s[0:1], s[20:21]
	s_cbranch_execz .LBB0_6
; %bb.5:                                ;   in Loop: Header=BB0_2 Depth=1
	v_cvt_f32_u32_e32 v4, s18
	s_sub_i32 s20, 0, s18
	v_rcp_iflag_f32_e32 v4, v4
	v_mul_f32_e32 v4, 0x4f7ffffe, v4
	v_cvt_u32_f32_e32 v4, v4
	v_mul_lo_u32 v7, s20, v4
	v_mul_hi_u32 v7, v4, v7
	v_add_u32_e32 v4, v4, v7
	v_mul_hi_u32 v4, v5, v4
	v_mul_lo_u32 v7, v4, s18
	v_add_u32_e32 v8, 1, v4
	v_sub_u32_e32 v7, v5, v7
	v_subrev_u32_e32 v9, s18, v7
	v_cmp_le_u32_e32 vcc, s18, v7
	v_cndmask_b32_e32 v7, v7, v9, vcc
	v_cndmask_b32_e32 v4, v4, v8, vcc
	v_add_u32_e32 v8, 1, v4
	v_cmp_le_u32_e32 vcc, s18, v7
	v_cndmask_b32_e32 v7, v4, v8, vcc
	v_mov_b32_e32 v8, v3
.LBB0_6:                                ;   in Loop: Header=BB0_2 Depth=1
	s_or_b64 exec, exec, s[0:1]
	v_mul_lo_u32 v4, v8, s18
	v_mul_lo_u32 v11, v7, s19
	v_mad_u64_u32 v[9:10], s[0:1], v7, s18, 0
	s_load_dwordx2 s[0:1], s[6:7], 0x0
	s_add_u32 s16, s16, 1
	v_add3_u32 v4, v10, v11, v4
	v_sub_co_u32_e32 v5, vcc, v5, v9
	v_subb_co_u32_e32 v4, vcc, v6, v4, vcc
	s_waitcnt lgkmcnt(0)
	v_mul_lo_u32 v4, s0, v4
	v_mul_lo_u32 v6, s1, v5
	v_mad_u64_u32 v[1:2], s[0:1], s0, v5, v[1:2]
	s_addc_u32 s17, s17, 0
	s_add_u32 s6, s6, 8
	v_add3_u32 v2, v6, v2, v4
	v_mov_b32_e32 v4, s10
	v_mov_b32_e32 v5, s11
	s_addc_u32 s7, s7, 0
	v_cmp_ge_u64_e32 vcc, s[16:17], v[4:5]
	s_add_u32 s14, s14, 8
	s_addc_u32 s15, s15, 0
	s_cbranch_vccnz .LBB0_9
; %bb.7:                                ;   in Loop: Header=BB0_2 Depth=1
	v_mov_b32_e32 v5, v7
	v_mov_b32_e32 v6, v8
	s_branch .LBB0_2
.LBB0_8:
	v_mov_b32_e32 v8, v6
	v_mov_b32_e32 v7, v5
.LBB0_9:
	s_lshl_b64 s[0:1], s[10:11], 3
	s_add_u32 s0, s2, s0
	s_addc_u32 s1, s3, s1
	s_load_dwordx2 s[2:3], s[0:1], 0x0
	s_load_dwordx2 s[6:7], s[4:5], 0x20
                                        ; implicit-def: $vgpr18_vgpr19
                                        ; implicit-def: $vgpr22_vgpr23
                                        ; implicit-def: $vgpr26_vgpr27
                                        ; implicit-def: $vgpr30_vgpr31
                                        ; implicit-def: $vgpr34_vgpr35
                                        ; implicit-def: $vgpr38_vgpr39
                                        ; implicit-def: $vgpr42_vgpr43
                                        ; implicit-def: $vgpr46_vgpr47
                                        ; implicit-def: $vgpr50_vgpr51
                                        ; implicit-def: $vgpr54_vgpr55
                                        ; implicit-def: $vgpr58_vgpr59
                                        ; implicit-def: $vgpr14_vgpr15
                                        ; implicit-def: $vgpr10_vgpr11
	s_waitcnt lgkmcnt(0)
	v_mad_u64_u32 v[1:2], s[0:1], s2, v7, v[1:2]
	s_mov_b32 s0, 0x1501502
	v_mul_lo_u32 v3, s2, v8
	v_mul_lo_u32 v4, s3, v7
	v_mul_hi_u32 v5, v0, s0
	v_cmp_gt_u64_e64 s[0:1], s[6:7], v[7:8]
	s_movk_i32 s2, 0x96
	v_add3_u32 v2, v4, v2, v3
	v_mul_u32_u24_e32 v3, 0xc3, v5
	v_sub_u32_e32 v64, v0, v3
	v_cmp_gt_u32_e64 s[2:3], s2, v64
	v_lshlrev_b64 v[66:67], 4, v[1:2]
	s_and_b64 s[6:7], s[0:1], s[2:3]
	s_and_saveexec_b64 s[4:5], s[6:7]
	s_cbranch_execz .LBB0_11
; %bb.10:
	v_mov_b32_e32 v65, 0
	v_mov_b32_e32 v0, s13
	v_add_co_u32_e32 v2, vcc, s12, v66
	v_addc_co_u32_e32 v3, vcc, v0, v67, vcc
	v_lshlrev_b64 v[0:1], 4, v[64:65]
	s_movk_i32 s6, 0x1000
	v_add_co_u32_e32 v0, vcc, v2, v0
	v_addc_co_u32_e32 v1, vcc, v3, v1, vcc
	v_add_co_u32_e32 v2, vcc, s6, v0
	v_addc_co_u32_e32 v3, vcc, 0, v1, vcc
	s_movk_i32 s6, 0x2000
	v_add_co_u32_e32 v4, vcc, s6, v0
	v_addc_co_u32_e32 v5, vcc, 0, v1, vcc
	s_movk_i32 s6, 0x3000
	;; [unrolled: 3-line block ×5, first 2 shown]
	v_add_co_u32_e32 v68, vcc, s6, v0
	v_addc_co_u32_e32 v69, vcc, 0, v1, vcc
	global_load_dwordx4 v[8:11], v[0:1], off
	global_load_dwordx4 v[12:15], v[0:1], off offset:2400
	v_add_co_u32_e32 v0, vcc, 0x7000, v0
	v_addc_co_u32_e32 v1, vcc, 0, v1, vcc
	global_load_dwordx4 v[56:59], v[2:3], off offset:704
	global_load_dwordx4 v[52:55], v[2:3], off offset:3104
	;; [unrolled: 1-line block ×11, first 2 shown]
.LBB0_11:
	s_or_b64 exec, exec, s[4:5]
	s_waitcnt vmcnt(0)
	v_add_f64 v[68:69], v[16:17], v[12:13]
	s_mov_b32 s4, 0x1ea71119
	s_mov_b32 s5, 0x3fe22d96
	v_add_f64 v[70:71], v[14:15], -v[18:19]
	v_add_f64 v[72:73], v[20:21], v[56:57]
	v_add_f64 v[102:103], v[12:13], -v[16:17]
	s_mov_b32 s6, 0x42a4c3d2
	s_mov_b32 s10, 0xb2365da1
	v_mul_f64 v[110:111], v[68:69], s[4:5]
	s_mov_b32 s7, 0xbfea55e2
	s_mov_b32 s11, 0xbfd6b1d8
	v_add_f64 v[74:75], v[58:59], -v[22:23]
	v_add_f64 v[76:77], v[18:19], v[14:15]
	v_add_f64 v[104:105], v[56:57], -v[20:21]
	v_mul_f64 v[106:107], v[72:73], s[10:11]
	v_mul_f64 v[118:119], v[102:103], s[6:7]
	v_fma_f64 v[0:1], v[70:71], s[6:7], v[110:111]
	v_add_f64 v[80:81], v[24:25], v[52:53]
	s_mov_b32 s16, 0x2ef20147
	s_mov_b32 s14, 0x93053d00
	;; [unrolled: 1-line block ×4, first 2 shown]
	v_add_f64 v[78:79], v[22:23], v[58:59]
	v_mul_f64 v[122:123], v[104:105], s[16:17]
	v_fma_f64 v[2:3], v[74:75], s[16:17], v[106:107]
	v_fma_f64 v[4:5], v[76:77], s[4:5], -v[118:119]
	v_add_f64 v[0:1], v[8:9], v[0:1]
	v_add_f64 v[82:83], v[54:55], -v[26:27]
	v_mul_f64 v[88:89], v[80:81], s[14:15]
	v_add_f64 v[84:85], v[28:29], v[48:49]
	s_mov_b32 s20, 0x4bc48dbf
	s_mov_b32 s18, 0xd0032e0c
	;; [unrolled: 1-line block ×4, first 2 shown]
	v_fma_f64 v[6:7], v[78:79], s[10:11], -v[122:123]
	v_add_f64 v[4:5], v[10:11], v[4:5]
	v_add_f64 v[0:1], v[2:3], v[0:1]
	v_fma_f64 v[2:3], v[82:83], s[20:21], v[88:89]
	v_add_f64 v[92:93], v[50:51], -v[30:31]
	v_mul_f64 v[98:99], v[84:85], s[18:19]
	s_mov_b32 s36, 0x24c2f84
	s_mov_b32 s22, 0xebaa3ed8
	;; [unrolled: 1-line block ×6, first 2 shown]
	v_add_f64 v[4:5], v[6:7], v[4:5]
	v_add_f64 v[0:1], v[2:3], v[0:1]
	v_fma_f64 v[6:7], v[92:93], s[36:37], v[98:99]
	v_mul_f64 v[146:147], v[68:69], s[22:23]
	v_mul_f64 v[160:161], v[102:103], s[26:27]
	v_add_f64 v[90:91], v[52:53], -v[24:25]
	v_mul_f64 v[148:149], v[72:73], s[14:15]
	v_mul_f64 v[164:165], v[104:105], s[20:21]
	s_mov_b32 s41, 0x3fedeba7
	s_mov_b32 s40, s16
	v_add_f64 v[0:1], v[6:7], v[0:1]
	v_fma_f64 v[6:7], v[70:71], s[26:27], v[146:147]
	v_fma_f64 v[60:61], v[76:77], s[22:23], -v[160:161]
	v_add_f64 v[86:87], v[26:27], v[54:55]
	v_mul_f64 v[124:125], v[90:91], s[20:21]
	v_add_f64 v[100:101], v[48:49], -v[28:29]
	v_fma_f64 v[116:117], v[74:75], s[20:21], v[148:149]
	v_fma_f64 v[120:121], v[78:79], s[14:15], -v[164:165]
	v_mul_f64 v[150:151], v[80:81], s[10:11]
	v_add_f64 v[6:7], v[8:9], v[6:7]
	v_add_f64 v[60:61], v[10:11], v[60:61]
	v_mul_f64 v[158:159], v[90:91], s[40:41]
	s_mov_b32 s28, 0xe00740e9
	s_mov_b32 s29, 0x3fec55a7
	;; [unrolled: 1-line block ×4, first 2 shown]
	v_fma_f64 v[2:3], v[86:87], s[14:15], -v[124:125]
	v_add_f64 v[94:95], v[32:33], v[44:45]
	v_add_f64 v[96:97], v[30:31], v[50:51]
	v_mul_f64 v[132:133], v[100:101], s[36:37]
	v_add_f64 v[126:127], v[44:45], -v[32:33]
	v_add_f64 v[6:7], v[116:117], v[6:7]
	v_add_f64 v[60:61], v[120:121], v[60:61]
	v_fma_f64 v[120:121], v[82:83], s[40:41], v[150:151]
	v_fma_f64 v[130:131], v[86:87], s[10:11], -v[158:159]
	v_mul_f64 v[152:153], v[84:85], s[28:29]
	v_mul_f64 v[162:163], v[100:101], s[30:31]
	s_mov_b32 s39, 0x3fefc445
	s_mov_b32 s38, s26
	v_add_f64 v[108:109], v[46:47], -v[34:35]
	v_mul_f64 v[112:113], v[94:95], s[22:23]
	v_add_f64 v[2:3], v[2:3], v[4:5]
	v_fma_f64 v[4:5], v[96:97], s[18:19], -v[132:133]
	v_add_f64 v[114:115], v[34:35], v[46:47]
	v_mul_f64 v[136:137], v[126:127], s[38:39]
	v_add_f64 v[116:117], v[36:37], v[40:41]
	v_add_f64 v[128:129], v[40:41], -v[36:37]
	v_add_f64 v[6:7], v[120:121], v[6:7]
	v_add_f64 v[60:61], v[130:131], v[60:61]
	v_fma_f64 v[138:139], v[92:93], s[30:31], v[152:153]
	v_fma_f64 v[140:141], v[96:97], s[28:29], -v[162:163]
	v_mul_f64 v[156:157], v[94:95], s[4:5]
	v_mul_f64 v[166:167], v[126:127], s[6:7]
	s_mov_b32 s35, 0xbfe5384d
	s_mov_b32 s34, s36
	v_fma_f64 v[62:63], v[108:109], s[38:39], v[112:113]
	v_add_f64 v[2:3], v[4:5], v[2:3]
	v_fma_f64 v[4:5], v[114:115], s[22:23], -v[136:137]
	v_add_f64 v[130:131], v[42:43], -v[38:39]
	v_mul_f64 v[134:135], v[116:117], s[28:29]
	v_add_f64 v[120:121], v[38:39], v[42:43]
	v_mul_f64 v[144:145], v[128:129], s[30:31]
	v_add_f64 v[6:7], v[138:139], v[6:7]
	v_add_f64 v[60:61], v[140:141], v[60:61]
	v_fma_f64 v[138:139], v[108:109], s[6:7], v[156:157]
	v_fma_f64 v[140:141], v[114:115], s[4:5], -v[166:167]
	v_mul_f64 v[154:155], v[116:117], s[18:19]
	v_mul_f64 v[168:169], v[128:129], s[34:35]
	v_add_f64 v[0:1], v[62:63], v[0:1]
	v_add_f64 v[2:3], v[4:5], v[2:3]
	v_fma_f64 v[4:5], v[130:131], s[30:31], v[134:135]
	v_fma_f64 v[62:63], v[120:121], s[28:29], -v[144:145]
	v_add_f64 v[138:139], v[138:139], v[6:7]
	v_add_f64 v[60:61], v[140:141], v[60:61]
	v_fma_f64 v[140:141], v[130:131], s[34:35], v[154:155]
	v_fma_f64 v[142:143], v[120:121], s[18:19], -v[168:169]
	v_add_f64 v[4:5], v[4:5], v[0:1]
	v_add_f64 v[6:7], v[62:63], v[2:3]
	v_add_f64 v[0:1], v[140:141], v[138:139]
	v_add_f64 v[2:3], v[142:143], v[60:61]
	s_and_saveexec_b64 s[24:25], s[2:3]
	s_cbranch_execz .LBB0_13
; %bb.12:
	v_mul_f64 v[60:61], v[102:103], s[20:21]
	v_mul_f64 v[62:63], v[70:71], s[20:21]
	;; [unrolled: 1-line block ×5, first 2 shown]
	s_mov_b32 s3, 0x3fea55e2
	s_mov_b32 s2, s6
	v_mul_f64 v[210:211], v[82:83], s[34:35]
	v_fma_f64 v[172:173], v[76:77], s[14:15], -v[60:61]
	v_fma_f64 v[176:177], v[68:69], s[14:15], v[62:63]
	v_fma_f64 v[180:181], v[78:79], s[28:29], -v[170:171]
	v_fma_f64 v[212:213], v[72:73], s[28:29], v[174:175]
	v_mul_f64 v[214:215], v[100:101], s[2:3]
	v_fma_f64 v[216:217], v[86:87], s[18:19], -v[178:179]
	v_fma_f64 v[60:61], v[76:77], s[14:15], v[60:61]
	v_fma_f64 v[220:221], v[80:81], s[18:19], v[210:211]
	v_add_f64 v[172:173], v[10:11], v[172:173]
	v_add_f64 v[176:177], v[8:9], v[176:177]
	v_fma_f64 v[170:171], v[78:79], s[28:29], v[170:171]
	v_fma_f64 v[178:179], v[86:87], s[18:19], v[178:179]
	v_fma_f64 v[222:223], v[96:97], s[4:5], -v[214:215]
	v_fma_f64 v[214:215], v[96:97], s[4:5], v[214:215]
	v_add_f64 v[60:61], v[10:11], v[60:61]
	v_mul_f64 v[142:143], v[108:109], s[38:39]
	v_add_f64 v[172:173], v[180:181], v[172:173]
	v_mul_f64 v[180:181], v[92:93], s[2:3]
	v_add_f64 v[176:177], v[212:213], v[176:177]
	v_mul_f64 v[212:213], v[126:127], s[16:17]
	v_fma_f64 v[210:211], v[80:81], s[18:19], -v[210:211]
	v_mul_f64 v[238:239], v[82:83], s[6:7]
	v_add_f64 v[60:61], v[170:171], v[60:61]
	v_mul_f64 v[188:189], v[76:77], s[22:23]
	v_add_f64 v[172:173], v[216:217], v[172:173]
	v_mul_f64 v[216:217], v[108:109], s[16:17]
	v_fma_f64 v[224:225], v[84:85], s[4:5], v[180:181]
	v_add_f64 v[176:177], v[220:221], v[176:177]
	v_mul_f64 v[220:221], v[128:129], s[38:39]
	v_fma_f64 v[226:227], v[114:115], s[10:11], -v[212:213]
	v_add_f64 v[60:61], v[178:179], v[60:61]
	v_fma_f64 v[178:179], v[68:69], s[14:15], -v[62:63]
	v_add_f64 v[172:173], v[222:223], v[172:173]
	v_mul_f64 v[222:223], v[130:131], s[38:39]
	v_fma_f64 v[228:229], v[94:95], s[10:11], v[216:217]
	v_add_f64 v[170:171], v[224:225], v[176:177]
	v_fma_f64 v[176:177], v[120:121], s[22:23], -v[220:221]
	v_fma_f64 v[180:181], v[84:85], s[4:5], -v[180:181]
	v_fma_f64 v[246:247], v[80:81], s[4:5], v[238:239]
	v_add_f64 v[178:179], v[8:9], v[178:179]
	v_add_f64 v[172:173], v[226:227], v[172:173]
	v_fma_f64 v[226:227], v[116:117], s[22:23], v[222:223]
	v_fma_f64 v[216:217], v[94:95], s[10:11], -v[216:217]
	v_add_f64 v[170:171], v[228:229], v[170:171]
	v_fma_f64 v[222:223], v[116:117], s[22:23], -v[222:223]
	v_mul_f64 v[196:197], v[78:79], s[14:15]
	v_add_f64 v[160:161], v[188:189], v[160:161]
	v_mul_f64 v[202:203], v[86:87], s[10:11]
	v_add_f64 v[62:63], v[176:177], v[172:173]
	v_mul_f64 v[176:177], v[102:103], s[34:35]
	v_fma_f64 v[172:173], v[114:115], s[10:11], v[212:213]
	v_add_f64 v[212:213], v[214:215], v[60:61]
	v_add_f64 v[60:61], v[226:227], v[170:171]
	v_fma_f64 v[170:171], v[72:73], s[28:29], -v[174:175]
	v_mul_f64 v[174:175], v[70:71], s[34:35]
	v_fma_f64 v[214:215], v[120:121], s[22:23], v[220:221]
	v_mul_f64 v[220:221], v[104:105], s[38:39]
	v_fma_f64 v[226:227], v[76:77], s[18:19], -v[176:177]
	v_fma_f64 v[176:177], v[76:77], s[18:19], v[176:177]
	v_add_f64 v[172:173], v[172:173], v[212:213]
	v_mul_f64 v[212:213], v[74:75], s[38:39]
	v_add_f64 v[170:171], v[170:171], v[178:179]
	v_fma_f64 v[234:235], v[68:69], s[18:19], v[174:175]
	v_mul_f64 v[178:179], v[90:91], s[6:7]
	v_fma_f64 v[236:237], v[78:79], s[22:23], -v[220:221]
	v_add_f64 v[226:227], v[10:11], v[226:227]
	s_mov_b32 s39, 0x3fcea1e5
	s_mov_b32 s38, s20
	v_fma_f64 v[240:241], v[72:73], s[22:23], v[212:213]
	v_mul_f64 v[242:243], v[100:101], s[38:39]
	v_add_f64 v[234:235], v[8:9], v[234:235]
	v_fma_f64 v[244:245], v[86:87], s[4:5], -v[178:179]
	v_add_f64 v[170:171], v[210:211], v[170:171]
	v_add_f64 v[226:227], v[236:237], v[226:227]
	v_mul_f64 v[236:237], v[92:93], s[38:39]
	v_mul_f64 v[210:211], v[126:127], s[30:31]
	v_fma_f64 v[220:221], v[78:79], s[22:23], v[220:221]
	v_add_f64 v[172:173], v[214:215], v[172:173]
	v_add_f64 v[234:235], v[240:241], v[234:235]
	v_fma_f64 v[240:241], v[96:97], s[14:15], -v[242:243]
	v_add_f64 v[170:171], v[180:181], v[170:171]
	v_add_f64 v[226:227], v[244:245], v[226:227]
	v_mul_f64 v[244:245], v[108:109], s[30:31]
	v_fma_f64 v[248:249], v[84:85], s[14:15], v[236:237]
	v_mul_f64 v[180:181], v[128:129], s[16:17]
	v_fma_f64 v[214:215], v[68:69], s[18:19], -v[174:175]
	v_add_f64 v[234:235], v[246:247], v[234:235]
	v_fma_f64 v[246:247], v[114:115], s[28:29], -v[210:211]
	v_add_f64 v[170:171], v[216:217], v[170:171]
	v_add_f64 v[226:227], v[240:241], v[226:227]
	v_mul_f64 v[240:241], v[130:131], s[16:17]
	v_fma_f64 v[250:251], v[94:95], s[28:29], v[244:245]
	v_fma_f64 v[216:217], v[120:121], s[10:11], -v[180:181]
	v_fma_f64 v[178:179], v[86:87], s[4:5], v[178:179]
	v_add_f64 v[234:235], v[248:249], v[234:235]
	v_add_f64 v[248:249], v[10:11], v[176:177]
	v_fma_f64 v[212:213], v[72:73], s[22:23], -v[212:213]
	v_add_f64 v[226:227], v[246:247], v[226:227]
	v_fma_f64 v[246:247], v[116:117], s[10:11], v[240:241]
	v_add_f64 v[214:215], v[8:9], v[214:215]
	v_add_f64 v[170:171], v[222:223], v[170:171]
	v_fma_f64 v[222:223], v[96:97], s[14:15], v[242:243]
	v_add_f64 v[234:235], v[250:251], v[234:235]
	v_add_f64 v[220:221], v[220:221], v[248:249]
	;; [unrolled: 1-line block ×4, first 2 shown]
	v_mul_f64 v[216:217], v[102:103], s[16:17]
	v_mul_f64 v[226:227], v[104:105], s[36:37]
	v_add_f64 v[212:213], v[212:213], v[214:215]
	v_add_f64 v[160:161], v[10:11], v[160:161]
	v_add_f64 v[174:175], v[246:247], v[234:235]
	v_add_f64 v[178:179], v[178:179], v[220:221]
	v_fma_f64 v[220:221], v[80:81], s[4:5], -v[238:239]
	v_add_f64 v[14:15], v[14:15], v[10:11]
	v_fma_f64 v[234:235], v[76:77], s[10:11], -v[216:217]
	v_fma_f64 v[242:243], v[78:79], s[18:19], -v[226:227]
	v_add_f64 v[12:13], v[12:13], v[8:9]
	v_mul_f64 v[208:209], v[96:97], s[28:29]
	v_fma_f64 v[210:211], v[114:115], s[28:29], v[210:211]
	v_add_f64 v[178:179], v[222:223], v[178:179]
	v_fma_f64 v[222:223], v[84:85], s[14:15], -v[236:237]
	v_add_f64 v[212:213], v[220:221], v[212:213]
	v_add_f64 v[234:235], v[10:11], v[234:235]
	;; [unrolled: 1-line block ×6, first 2 shown]
	v_mul_f64 v[230:231], v[114:115], s[4:5]
	v_fma_f64 v[180:181], v[120:121], s[10:11], v[180:181]
	v_add_f64 v[212:213], v[222:223], v[212:213]
	v_add_f64 v[234:235], v[242:243], v[234:235]
	v_fma_f64 v[242:243], v[94:95], s[28:29], -v[244:245]
	v_add_f64 v[178:179], v[210:211], v[178:179]
	v_fma_f64 v[210:211], v[116:117], s[10:11], -v[240:241]
	v_add_f64 v[162:163], v[208:209], v[162:163]
	v_add_f64 v[158:159], v[158:159], v[160:161]
	v_mul_f64 v[238:239], v[70:71], s[16:17]
	v_mul_f64 v[214:215], v[90:91], s[30:31]
	v_add_f64 v[14:15], v[54:55], v[14:15]
	v_add_f64 v[212:213], v[242:243], v[212:213]
	;; [unrolled: 1-line block ×3, first 2 shown]
	v_mul_f64 v[184:185], v[76:77], s[4:5]
	v_add_f64 v[180:181], v[180:181], v[178:179]
	v_add_f64 v[166:167], v[230:231], v[166:167]
	v_add_f64 v[158:159], v[162:163], v[158:159]
	v_mul_f64 v[236:237], v[74:75], s[36:37]
	v_fma_f64 v[246:247], v[68:69], s[10:11], v[238:239]
	v_add_f64 v[178:179], v[210:211], v[212:213]
	v_mul_f64 v[210:211], v[120:121], s[18:19]
	v_mul_f64 v[220:221], v[100:101], s[26:27]
	v_fma_f64 v[248:249], v[86:87], s[28:29], -v[214:215]
	v_add_f64 v[14:15], v[50:51], v[14:15]
	v_add_f64 v[48:49], v[48:49], v[12:13]
	v_mul_f64 v[182:183], v[70:71], s[6:7]
	v_mul_f64 v[192:193], v[78:79], s[10:11]
	v_add_f64 v[158:159], v[166:167], v[158:159]
	v_add_f64 v[168:169], v[210:211], v[168:169]
	v_add_f64 v[166:167], v[184:185], v[118:119]
	v_mul_f64 v[244:245], v[82:83], s[30:31]
	v_fma_f64 v[250:251], v[72:73], s[18:19], v[236:237]
	v_add_f64 v[246:247], v[8:9], v[246:247]
	v_mul_f64 v[222:223], v[126:127], s[38:39]
	v_fma_f64 v[252:253], v[96:97], s[22:23], -v[220:221]
	v_add_f64 v[234:235], v[248:249], v[234:235]
	v_mul_f64 v[206:207], v[92:93], s[30:31]
	v_mul_f64 v[228:229], v[130:131], s[30:31]
	s_mov_b32 s31, 0xbfddbe06
	v_add_f64 v[14:15], v[46:47], v[14:15]
	v_add_f64 v[44:45], v[44:45], v[48:49]
	v_mul_f64 v[190:191], v[74:75], s[16:17]
	v_mul_f64 v[198:199], v[86:87], s[14:15]
	v_add_f64 v[118:119], v[168:169], v[158:159]
	v_add_f64 v[122:123], v[192:193], v[122:123]
	;; [unrolled: 1-line block ×3, first 2 shown]
	v_add_f64 v[110:111], v[110:111], -v[182:183]
	v_mul_f64 v[102:103], v[102:103], s[30:31]
	v_mul_f64 v[46:47], v[70:71], s[30:31]
	;; [unrolled: 1-line block ×3, first 2 shown]
	v_fma_f64 v[240:241], v[80:81], s[28:29], v[244:245]
	v_add_f64 v[246:247], v[250:251], v[246:247]
	v_mul_f64 v[248:249], v[92:93], s[26:27]
	v_fma_f64 v[242:243], v[114:115], s[14:15], -v[222:223]
	v_add_f64 v[234:235], v[252:253], v[234:235]
	v_add_f64 v[14:15], v[42:43], v[14:15]
	;; [unrolled: 1-line block ×3, first 2 shown]
	v_mul_f64 v[194:195], v[74:75], s[20:21]
	v_mul_f64 v[138:139], v[82:83], s[20:21]
	;; [unrolled: 1-line block ×3, first 2 shown]
	v_fma_f64 v[216:217], v[76:77], s[10:11], v[216:217]
	v_add_f64 v[124:125], v[198:199], v[124:125]
	v_add_f64 v[122:123], v[122:123], v[158:159]
	v_add_f64 v[106:107], v[106:107], -v[190:191]
	v_add_f64 v[110:111], v[8:9], v[110:111]
	v_mul_f64 v[104:105], v[104:105], s[6:7]
	v_fma_f64 v[158:159], v[76:77], s[28:29], -v[102:103]
	v_fma_f64 v[76:77], v[76:77], s[28:29], v[102:103]
	v_mul_f64 v[74:75], v[74:75], s[6:7]
	v_fma_f64 v[42:43], v[68:69], s[28:29], -v[46:47]
	v_add_f64 v[146:147], v[146:147], -v[186:187]
	v_add_f64 v[240:241], v[240:241], v[246:247]
	v_fma_f64 v[246:247], v[84:85], s[22:23], v[248:249]
	v_add_f64 v[212:213], v[242:243], v[234:235]
	v_mul_f64 v[234:235], v[108:109], s[38:39]
	v_fma_f64 v[238:239], v[68:69], s[10:11], -v[238:239]
	v_fma_f64 v[46:47], v[68:69], s[28:29], v[46:47]
	v_add_f64 v[14:15], v[38:39], v[14:15]
	v_add_f64 v[36:37], v[36:37], v[40:41]
	v_mul_f64 v[140:141], v[92:93], s[36:37]
	v_mul_f64 v[218:219], v[114:115], s[22:23]
	v_add_f64 v[216:217], v[10:11], v[216:217]
	v_add_f64 v[132:133], v[204:205], v[132:133]
	;; [unrolled: 1-line block ×3, first 2 shown]
	v_add_f64 v[88:89], v[88:89], -v[138:139]
	v_add_f64 v[106:107], v[106:107], v[110:111]
	v_mul_f64 v[90:91], v[90:91], s[26:27]
	v_add_f64 v[124:125], v[10:11], v[158:159]
	v_mul_f64 v[44:45], v[82:83], s[26:27]
	v_fma_f64 v[68:69], v[78:79], s[4:5], v[104:105]
	v_add_f64 v[10:11], v[10:11], v[76:77]
	v_fma_f64 v[76:77], v[72:73], s[4:5], -v[74:75]
	v_add_f64 v[38:39], v[8:9], v[42:43]
	v_mul_f64 v[200:201], v[82:83], s[40:41]
	v_add_f64 v[148:149], v[148:149], -v[194:195]
	v_add_f64 v[146:147], v[8:9], v[146:147]
	v_add_f64 v[240:241], v[246:247], v[240:241]
	v_fma_f64 v[188:189], v[78:79], s[18:19], v[226:227]
	v_fma_f64 v[226:227], v[94:95], s[14:15], v[234:235]
	v_fma_f64 v[236:237], v[72:73], s[18:19], -v[236:237]
	v_add_f64 v[238:239], v[8:9], v[238:239]
	v_fma_f64 v[40:41], v[72:73], s[4:5], v[74:75]
	v_add_f64 v[8:9], v[8:9], v[46:47]
	v_fma_f64 v[110:111], v[78:79], s[4:5], -v[104:105]
	v_add_f64 v[14:15], v[34:35], v[14:15]
	v_add_f64 v[32:33], v[32:33], v[36:37]
	v_mul_f64 v[232:233], v[120:121], s[28:29]
	v_add_f64 v[136:137], v[218:219], v[136:137]
	v_add_f64 v[56:57], v[132:133], v[122:123]
	v_add_f64 v[58:59], v[98:99], -v[140:141]
	v_add_f64 v[88:89], v[88:89], v[106:107]
	v_mul_f64 v[98:99], v[100:101], s[16:17]
	v_mul_f64 v[92:93], v[92:93], s[16:17]
	v_fma_f64 v[42:43], v[86:87], s[22:23], v[90:91]
	v_add_f64 v[10:11], v[68:69], v[10:11]
	v_fma_f64 v[46:47], v[80:81], s[22:23], -v[44:45]
	v_add_f64 v[34:35], v[76:77], v[38:39]
	v_add_f64 v[150:151], v[150:151], -v[200:201]
	v_add_f64 v[146:147], v[148:149], v[146:147]
	v_fma_f64 v[214:215], v[86:87], s[28:29], v[214:215]
	v_add_f64 v[188:189], v[188:189], v[216:217]
	v_add_f64 v[216:217], v[226:227], v[240:241]
	v_fma_f64 v[186:187], v[80:81], s[28:29], -v[244:245]
	v_add_f64 v[226:227], v[236:237], v[238:239]
	v_fma_f64 v[36:37], v[80:81], s[22:23], v[44:45]
	v_add_f64 v[8:9], v[40:41], v[8:9]
	v_fma_f64 v[100:101], v[86:87], s[22:23], -v[90:91]
	v_add_f64 v[106:107], v[110:111], v[124:125]
	v_add_f64 v[14:15], v[30:31], v[14:15]
	;; [unrolled: 1-line block ×5, first 2 shown]
	v_add_f64 v[54:55], v[112:113], -v[142:143]
	v_add_f64 v[56:57], v[58:59], v[88:89]
	v_mul_f64 v[58:59], v[126:127], s[34:35]
	v_mul_f64 v[70:71], v[108:109], s[34:35]
	v_fma_f64 v[38:39], v[96:97], s[10:11], v[98:99]
	v_add_f64 v[10:11], v[42:43], v[10:11]
	v_fma_f64 v[40:41], v[84:85], s[10:11], -v[92:93]
	v_add_f64 v[30:31], v[46:47], v[34:35]
	v_mul_f64 v[224:225], v[108:109], s[6:7]
	v_add_f64 v[152:153], v[152:153], -v[206:207]
	v_add_f64 v[146:147], v[150:151], v[146:147]
	v_fma_f64 v[164:165], v[96:97], s[22:23], v[220:221]
	v_add_f64 v[188:189], v[214:215], v[188:189]
	v_fma_f64 v[194:195], v[84:85], s[22:23], -v[248:249]
	v_add_f64 v[186:187], v[186:187], v[226:227]
	v_fma_f64 v[32:33], v[84:85], s[10:11], v[92:93]
	v_add_f64 v[8:9], v[36:37], v[8:9]
	v_fma_f64 v[88:89], v[96:97], s[10:11], -v[98:99]
	v_add_f64 v[100:101], v[100:101], v[106:107]
	v_add_f64 v[14:15], v[26:27], v[14:15]
	;; [unrolled: 1-line block ×5, first 2 shown]
	v_mul_f64 v[54:55], v[128:129], s[20:21]
	v_mul_f64 v[48:49], v[130:131], s[20:21]
	v_fma_f64 v[34:35], v[114:115], s[18:19], v[58:59]
	v_add_f64 v[10:11], v[38:39], v[10:11]
	v_fma_f64 v[36:37], v[94:95], s[18:19], -v[70:71]
	v_add_f64 v[26:27], v[40:41], v[30:31]
	v_mul_f64 v[250:251], v[130:131], s[34:35]
	v_add_f64 v[156:157], v[156:157], -v[224:225]
	v_add_f64 v[184:185], v[152:153], v[146:147]
	v_mul_f64 v[252:253], v[128:129], s[2:3]
	v_mul_f64 v[246:247], v[130:131], s[2:3]
	v_fma_f64 v[160:161], v[114:115], s[14:15], v[222:223]
	v_add_f64 v[164:165], v[164:165], v[188:189]
	v_fma_f64 v[148:149], v[94:95], s[14:15], -v[234:235]
	v_add_f64 v[186:187], v[194:195], v[186:187]
	v_fma_f64 v[28:29], v[94:95], s[18:19], v[70:71]
	v_add_f64 v[8:9], v[32:33], v[8:9]
	v_fma_f64 v[56:57], v[114:115], s[18:19], -v[58:59]
	v_add_f64 v[88:89], v[88:89], v[100:101]
	v_add_f64 v[14:15], v[22:23], v[14:15]
	;; [unrolled: 1-line block ×3, first 2 shown]
	v_fma_f64 v[30:31], v[120:121], s[14:15], v[54:55]
	v_add_f64 v[10:11], v[34:35], v[10:11]
	v_fma_f64 v[32:33], v[116:117], s[14:15], -v[48:49]
	v_add_f64 v[26:27], v[36:37], v[26:27]
	v_add_f64 v[50:51], v[134:135], -v[228:229]
	v_add_f64 v[154:155], v[154:155], -v[250:251]
	v_add_f64 v[156:157], v[156:157], v[184:185]
	v_fma_f64 v[162:163], v[120:121], s[4:5], v[252:253]
	v_add_f64 v[160:161], v[160:161], v[164:165]
	v_fma_f64 v[150:151], v[116:117], s[4:5], -v[246:247]
	v_add_f64 v[164:165], v[148:149], v[186:187]
	v_fma_f64 v[38:39], v[116:117], s[14:15], v[48:49]
	v_add_f64 v[8:9], v[28:29], v[8:9]
	v_fma_f64 v[242:243], v[120:121], s[4:5], -v[252:253]
	v_fma_f64 v[196:197], v[116:117], s[4:5], v[246:247]
	v_fma_f64 v[34:35], v[120:121], s[14:15], -v[54:55]
	v_add_f64 v[36:37], v[56:57], v[88:89]
	v_add_f64 v[24:25], v[18:19], v[14:15]
	;; [unrolled: 1-line block ×9, first 2 shown]
	s_movk_i32 s2, 0xd0
	v_add_f64 v[14:15], v[38:39], v[8:9]
	v_mad_u32_u24 v8, v64, s2, 0
	v_add_f64 v[148:149], v[242:243], v[212:213]
	v_add_f64 v[146:147], v[196:197], v[216:217]
	;; [unrolled: 1-line block ×3, first 2 shown]
	ds_write_b128 v8, v[22:25]
	ds_write_b128 v8, v[18:21] offset:16
	ds_write_b128 v8, v[10:13] offset:32
	;; [unrolled: 1-line block ×12, first 2 shown]
.LBB0_13:
	s_or_b64 exec, exec, s[24:25]
	s_movk_i32 s2, 0x4f
	v_mul_lo_u16_sdwa v8, v64, s2 dst_sel:DWORD dst_unused:UNUSED_PAD src0_sel:BYTE_0 src1_sel:DWORD
	v_lshrrev_b16_e32 v49, 10, v8
	v_mul_lo_u16_e32 v8, 13, v49
	v_sub_u16_e32 v63, v64, v8
	v_mov_b32_e32 v8, 6
	v_lshlrev_b32_sdwa v24, v8, v63 dst_sel:DWORD dst_unused:UNUSED_PAD src0_sel:DWORD src1_sel:BYTE_0
	s_waitcnt lgkmcnt(0)
	s_barrier
	global_load_dwordx4 v[8:11], v24, s[8:9] offset:16
	global_load_dwordx4 v[12:15], v24, s[8:9]
	global_load_dwordx4 v[16:19], v24, s[8:9] offset:48
	global_load_dwordx4 v[20:23], v24, s[8:9] offset:32
	v_add_u32_e32 v50, 0xc3, v64
	s_movk_i32 s2, 0x4ec5
	v_mul_u32_u24_sdwa v24, v50, s2 dst_sel:DWORD dst_unused:UNUSED_PAD src0_sel:WORD_0 src1_sel:DWORD
	v_lshrrev_b32_e32 v65, 18, v24
	v_mul_lo_u16_e32 v24, 13, v65
	v_sub_u16_e32 v104, v50, v24
	v_lshlrev_b32_e32 v40, 6, v104
	global_load_dwordx4 v[24:27], v40, s[8:9]
	global_load_dwordx4 v[28:31], v40, s[8:9] offset:16
	global_load_dwordx4 v[32:35], v40, s[8:9] offset:32
	;; [unrolled: 1-line block ×3, first 2 shown]
	v_lshl_add_u32 v48, v64, 4, 0
	ds_read_b128 v[40:43], v48
	ds_read_b128 v[44:47], v48 offset:3120
	ds_read_b128 v[51:54], v48 offset:6240
	;; [unrolled: 1-line block ×9, first 2 shown]
	s_mov_b32 s2, 0x134454ff
	s_mov_b32 s3, 0x3fee6f0e
	;; [unrolled: 1-line block ×10, first 2 shown]
	s_waitcnt vmcnt(0) lgkmcnt(0)
	s_barrier
	s_movk_i32 s16, 0xfd
	v_mul_f64 v[90:91], v[61:62], v[10:11]
	v_mul_f64 v[88:89], v[53:54], v[14:15]
	v_mul_f64 v[14:15], v[51:52], v[14:15]
	v_mul_f64 v[10:11], v[59:60], v[10:11]
	v_mul_f64 v[92:93], v[74:75], v[22:23]
	v_mul_f64 v[22:23], v[72:73], v[22:23]
	v_mul_f64 v[94:95], v[82:83], v[18:19]
	v_mul_f64 v[18:19], v[80:81], v[18:19]
	v_mul_f64 v[96:97], v[57:58], v[26:27]
	v_mul_f64 v[26:27], v[55:56], v[26:27]
	v_mul_f64 v[98:99], v[70:71], v[30:31]
	v_mul_f64 v[30:31], v[68:69], v[30:31]
	v_mul_f64 v[100:101], v[78:79], v[34:35]
	v_mul_f64 v[34:35], v[76:77], v[34:35]
	v_mul_f64 v[102:103], v[86:87], v[38:39]
	v_mul_f64 v[38:39], v[84:85], v[38:39]
	v_fma_f64 v[51:52], v[51:52], v[12:13], -v[88:89]
	v_fma_f64 v[12:13], v[53:54], v[12:13], v[14:15]
	v_fma_f64 v[14:15], v[59:60], v[8:9], -v[90:91]
	v_fma_f64 v[8:9], v[61:62], v[8:9], v[10:11]
	;; [unrolled: 2-line block ×8, first 2 shown]
	v_add_f64 v[18:19], v[40:41], v[51:52]
	v_add_f64 v[24:25], v[14:15], v[10:11]
	v_add_f64 v[33:34], v[51:52], -v[14:15]
	v_add_f64 v[37:38], v[22:23], -v[10:11]
	v_add_f64 v[70:71], v[51:52], v[22:23]
	v_add_f64 v[26:27], v[12:13], -v[16:17]
	v_add_f64 v[28:29], v[8:9], -v[20:21]
	;; [unrolled: 1-line block ×4, first 2 shown]
	v_add_f64 v[76:77], v[42:43], v[12:13]
	v_add_f64 v[78:79], v[8:9], v[20:21]
	v_add_f64 v[80:81], v[14:15], -v[10:11]
	v_add_f64 v[82:83], v[12:13], -v[8:9]
	v_add_f64 v[86:87], v[12:13], v[16:17]
	v_add_f64 v[88:89], v[8:9], -v[12:13]
	v_add_f64 v[12:13], v[44:45], v[53:54]
	v_add_f64 v[14:15], v[18:19], v[14:15]
	v_fma_f64 v[18:19], v[24:25], -0.5, v[40:41]
	v_add_f64 v[24:25], v[33:34], v[37:38]
	v_fma_f64 v[33:34], v[70:71], -0.5, v[40:41]
	v_add_f64 v[84:85], v[16:17], -v[20:21]
	v_add_f64 v[37:38], v[72:73], v[74:75]
	v_add_f64 v[8:9], v[76:77], v[8:9]
	v_fma_f64 v[39:40], v[78:79], -0.5, v[42:43]
	v_fma_f64 v[41:42], v[86:87], -0.5, v[42:43]
	v_add_f64 v[72:73], v[12:13], v[57:58]
	v_add_f64 v[10:11], v[14:15], v[10:11]
	v_fma_f64 v[12:13], v[26:27], s[2:3], v[18:19]
	v_fma_f64 v[14:15], v[26:27], s[10:11], v[18:19]
	;; [unrolled: 1-line block ×4, first 2 shown]
	v_add_f64 v[51:52], v[51:52], -v[22:23]
	v_add_f64 v[90:91], v[20:21], -v[16:17]
	v_add_f64 v[70:71], v[82:83], v[84:85]
	v_add_f64 v[20:21], v[8:9], v[20:21]
	v_fma_f64 v[78:79], v[80:81], s[2:3], v[41:42]
	v_fma_f64 v[41:42], v[80:81], s[10:11], v[41:42]
	;; [unrolled: 1-line block ×6, first 2 shown]
	v_add_f64 v[92:93], v[57:58], v[61:62]
	v_fma_f64 v[76:77], v[51:52], s[10:11], v[39:40]
	v_fma_f64 v[39:40], v[51:52], s[2:3], v[39:40]
	v_add_f64 v[8:9], v[10:11], v[22:23]
	v_add_f64 v[10:11], v[20:21], v[16:17]
	v_fma_f64 v[13:14], v[24:25], s[6:7], v[12:13]
	v_fma_f64 v[17:18], v[24:25], s[6:7], v[28:29]
	;; [unrolled: 1-line block ×4, first 2 shown]
	v_add_f64 v[23:24], v[53:54], v[68:69]
	v_fma_f64 v[27:28], v[51:52], s[14:15], v[78:79]
	v_add_f64 v[29:30], v[88:89], v[90:91]
	v_fma_f64 v[37:38], v[51:52], s[4:5], v[41:42]
	v_add_f64 v[94:95], v[55:56], -v[35:36]
	v_fma_f64 v[74:75], v[92:93], -0.5, v[44:45]
	v_fma_f64 v[15:16], v[80:81], s[14:15], v[76:77]
	v_fma_f64 v[19:20], v[80:81], s[4:5], v[39:40]
	v_add_f64 v[39:40], v[72:73], v[61:62]
	v_fma_f64 v[43:44], v[23:24], -0.5, v[44:45]
	v_fma_f64 v[23:24], v[29:30], s[6:7], v[27:28]
	v_fma_f64 v[27:28], v[29:30], s[6:7], v[37:38]
	v_add_f64 v[37:38], v[59:60], v[31:32]
	v_add_f64 v[72:73], v[55:56], v[35:36]
	;; [unrolled: 1-line block ×3, first 2 shown]
	v_add_f64 v[98:99], v[53:54], -v[57:58]
	v_fma_f64 v[33:34], v[94:95], s[2:3], v[74:75]
	v_fma_f64 v[15:16], v[70:71], s[6:7], v[15:16]
	;; [unrolled: 1-line block ×3, first 2 shown]
	v_add_f64 v[29:30], v[39:40], v[68:69]
	v_fma_f64 v[39:40], v[94:95], s[10:11], v[74:75]
	v_add_f64 v[70:71], v[57:58], -v[53:54]
	v_add_f64 v[74:75], v[61:62], -v[68:69]
	v_fma_f64 v[37:38], v[37:38], -0.5, v[46:47]
	v_add_f64 v[53:54], v[53:54], -v[68:69]
	v_add_f64 v[96:97], v[59:60], -v[31:32]
	;; [unrolled: 1-line block ×3, first 2 shown]
	v_fma_f64 v[45:46], v[72:73], -0.5, v[46:47]
	v_add_f64 v[100:101], v[68:69], -v[61:62]
	v_add_f64 v[68:69], v[76:77], v[59:60]
	v_add_f64 v[61:62], v[70:71], v[74:75]
	v_add_f64 v[72:73], v[55:56], -v[59:60]
	v_fma_f64 v[70:71], v[53:54], s[10:11], v[37:38]
	v_add_f64 v[74:75], v[35:36], -v[31:32]
	v_fma_f64 v[51:52], v[96:97], s[10:11], v[43:44]
	v_fma_f64 v[43:44], v[96:97], s[2:3], v[43:44]
	;; [unrolled: 1-line block ×3, first 2 shown]
	v_add_f64 v[55:56], v[59:60], -v[55:56]
	v_add_f64 v[59:60], v[31:32], -v[35:36]
	v_fma_f64 v[45:46], v[57:58], s[10:11], v[45:46]
	v_fma_f64 v[37:38], v[53:54], s[2:3], v[37:38]
	v_add_f64 v[31:32], v[68:69], v[31:32]
	v_fma_f64 v[33:34], v[96:97], s[4:5], v[33:34]
	v_add_f64 v[41:42], v[98:99], v[100:101]
	;; [unrolled: 2-line block ×3, first 2 shown]
	v_fma_f64 v[39:40], v[96:97], s[14:15], v[39:40]
	v_fma_f64 v[51:52], v[94:95], s[4:5], v[51:52]
	v_fma_f64 v[43:44], v[94:95], s[14:15], v[43:44]
	v_fma_f64 v[72:73], v[53:54], s[14:15], v[76:77]
	v_add_f64 v[55:56], v[55:56], v[59:60]
	v_fma_f64 v[45:46], v[53:54], s[4:5], v[45:46]
	v_fma_f64 v[57:58], v[57:58], s[4:5], v[37:38]
	v_add_f64 v[31:32], v[31:32], v[35:36]
	v_fma_f64 v[33:34], v[41:42], s[6:7], v[33:34]
	v_fma_f64 v[35:36], v[70:71], s[6:7], v[68:69]
	;; [unrolled: 1-line block ×7, first 2 shown]
	v_mov_b32_e32 v12, 4
	v_fma_f64 v[39:40], v[70:71], s[6:7], v[57:58]
	v_mul_u32_u24_e32 v45, 0x410, v49
	v_lshlrev_b32_sdwa v46, v12, v63 dst_sel:DWORD dst_unused:UNUSED_PAD src0_sel:DWORD src1_sel:BYTE_0
	v_add3_u32 v45, 0, v45, v46
	ds_write_b128 v45, v[8:11]
	ds_write_b128 v45, v[13:16] offset:208
	ds_write_b128 v45, v[21:24] offset:416
	;; [unrolled: 1-line block ×4, first 2 shown]
	v_mul_u32_u24_e32 v8, 0x410, v65
	v_lshlrev_b32_e32 v9, 4, v104
	v_add3_u32 v8, 0, v8, v9
	ds_write_b128 v8, v[29:32]
	ds_write_b128 v8, v[33:36] offset:208
	ds_write_b128 v8, v[41:44] offset:416
	;; [unrolled: 1-line block ×4, first 2 shown]
	v_mul_lo_u16_sdwa v8, v64, s16 dst_sel:DWORD dst_unused:UNUSED_PAD src0_sel:BYTE_0 src1_sel:DWORD
	v_lshrrev_b16_e32 v47, 14, v8
	v_mul_lo_u16_e32 v8, 0x41, v47
	v_sub_u16_e32 v49, v64, v8
	v_mov_b32_e32 v8, 9
	v_mul_u32_u24_sdwa v8, v49, v8 dst_sel:DWORD dst_unused:UNUSED_PAD src0_sel:BYTE_0 src1_sel:DWORD
	v_lshlrev_b32_e32 v45, 4, v8
	s_waitcnt lgkmcnt(0)
	s_barrier
	global_load_dwordx4 v[8:11], v45, s[8:9] offset:832
	global_load_dwordx4 v[13:16], v45, s[8:9] offset:880
	;; [unrolled: 1-line block ×9, first 2 shown]
	ds_read_b128 v[51:54], v48 offset:3120
	ds_read_b128 v[55:58], v48
	ds_read_b128 v[59:62], v48 offset:6240
	ds_read_b128 v[68:71], v48 offset:9360
	;; [unrolled: 1-line block ×8, first 2 shown]
	s_mov_b32 s16, 0x9b97f4a8
	s_mov_b32 s17, 0x3fe9e377
	v_lshlrev_b32_sdwa v12, v12, v49 dst_sel:DWORD dst_unused:UNUSED_PAD src0_sel:DWORD src1_sel:BYTE_0
	s_waitcnt vmcnt(0) lgkmcnt(0)
	s_barrier
	v_mul_f64 v[45:46], v[53:54], v[10:11]
	v_mul_f64 v[96:97], v[74:75], v[15:16]
	;; [unrolled: 1-line block ×8, first 2 shown]
	v_fma_f64 v[45:46], v[51:52], v[8:9], -v[45:46]
	v_mul_f64 v[51:52], v[61:62], v[23:24]
	v_mul_f64 v[23:24], v[59:60], v[23:24]
	v_fma_f64 v[96:97], v[72:73], v[13:14], -v[96:97]
	v_fma_f64 v[72:73], v[80:81], v[17:18], -v[98:99]
	v_mul_f64 v[98:99], v[88:89], v[31:32]
	v_fma_f64 v[8:9], v[53:54], v[8:9], v[10:11]
	v_mul_f64 v[31:32], v[90:91], v[31:32]
	v_fma_f64 v[13:14], v[74:75], v[13:14], v[15:16]
	v_fma_f64 v[10:11], v[59:60], v[21:22], -v[51:52]
	v_mul_f64 v[51:52], v[78:79], v[35:36]
	v_mul_f64 v[35:36], v[76:77], v[35:36]
	v_fma_f64 v[21:22], v[61:62], v[21:22], v[23:24]
	v_fma_f64 v[23:24], v[68:69], v[25:26], -v[100:101]
	v_fma_f64 v[25:26], v[70:71], v[25:26], v[27:28]
	v_add_f64 v[15:16], v[96:97], v[72:73]
	v_fma_f64 v[27:28], v[90:91], v[29:30], v[98:99]
	v_mul_f64 v[53:54], v[86:87], v[39:40]
	v_add_f64 v[59:60], v[55:56], v[10:11]
	v_fma_f64 v[17:18], v[82:83], v[17:18], v[19:20]
	v_fma_f64 v[29:30], v[88:89], v[29:30], -v[31:32]
	v_fma_f64 v[31:32], v[78:79], v[33:34], v[35:36]
	v_mul_f64 v[35:36], v[84:85], v[39:40]
	v_fma_f64 v[15:16], v[15:16], -0.5, v[55:56]
	v_add_f64 v[61:62], v[21:22], -v[27:28]
	v_fma_f64 v[19:20], v[76:77], v[33:34], -v[51:52]
	v_fma_f64 v[33:34], v[84:85], v[37:38], -v[53:54]
	v_add_f64 v[39:40], v[59:60], v[96:97]
	v_add_f64 v[59:60], v[10:11], -v[96:97]
	v_add_f64 v[68:69], v[29:30], -v[72:73]
	v_mul_f64 v[70:71], v[94:95], v[43:44]
	v_add_f64 v[74:75], v[10:11], v[29:30]
	v_fma_f64 v[35:36], v[86:87], v[37:38], v[35:36]
	v_add_f64 v[37:38], v[13:14], v[17:18]
	v_fma_f64 v[51:52], v[61:62], s[2:3], v[15:16]
	v_add_f64 v[53:54], v[13:14], -v[17:18]
	v_mul_f64 v[43:44], v[92:93], v[43:44]
	v_add_f64 v[39:40], v[39:40], v[72:73]
	v_add_f64 v[59:60], v[59:60], v[68:69]
	v_fma_f64 v[68:69], v[92:93], v[41:42], -v[70:71]
	v_fma_f64 v[55:56], v[74:75], -0.5, v[55:56]
	v_fma_f64 v[37:38], v[37:38], -0.5, v[57:58]
	v_add_f64 v[70:71], v[10:11], -v[29:30]
	v_fma_f64 v[15:16], v[61:62], s[10:11], v[15:16]
	v_fma_f64 v[51:52], v[53:54], s[4:5], v[51:52]
	;; [unrolled: 1-line block ×3, first 2 shown]
	v_add_f64 v[39:40], v[39:40], v[29:30]
	v_add_f64 v[43:44], v[57:58], v[21:22]
	v_fma_f64 v[74:75], v[53:54], s[10:11], v[55:56]
	v_add_f64 v[10:11], v[96:97], -v[10:11]
	v_add_f64 v[29:30], v[72:73], -v[29:30]
	v_fma_f64 v[55:56], v[53:54], s[2:3], v[55:56]
	v_fma_f64 v[76:77], v[70:71], s[10:11], v[37:38]
	v_add_f64 v[72:73], v[96:97], -v[72:73]
	v_add_f64 v[78:79], v[21:22], -v[13:14]
	;; [unrolled: 1-line block ×3, first 2 shown]
	v_fma_f64 v[15:16], v[53:54], s[14:15], v[15:16]
	v_fma_f64 v[51:52], v[59:60], s[6:7], v[51:52]
	v_add_f64 v[43:44], v[43:44], v[13:14]
	v_fma_f64 v[53:54], v[61:62], s[4:5], v[74:75]
	v_add_f64 v[10:11], v[10:11], v[29:30]
	;; [unrolled: 2-line block ×5, first 2 shown]
	v_add_f64 v[43:44], v[43:44], v[17:18]
	v_fma_f64 v[53:54], v[10:11], s[6:7], v[53:54]
	v_fma_f64 v[37:38], v[70:71], s[2:3], v[37:38]
	v_fma_f64 v[55:56], v[55:56], -0.5, v[57:58]
	v_fma_f64 v[10:11], v[10:11], s[6:7], v[29:30]
	v_fma_f64 v[57:58], v[74:75], s[6:7], v[61:62]
	v_add_f64 v[29:30], v[45:46], v[23:24]
	v_fma_f64 v[15:16], v[15:16], -0.5, v[45:46]
	v_add_f64 v[61:62], v[25:26], -v[41:42]
	v_add_f64 v[43:44], v[43:44], v[27:28]
	v_fma_f64 v[37:38], v[72:73], s[4:5], v[37:38]
	v_fma_f64 v[76:77], v[72:73], s[2:3], v[55:56]
	v_add_f64 v[13:14], v[13:14], -v[21:22]
	v_add_f64 v[17:18], v[17:18], -v[27:28]
	v_fma_f64 v[21:22], v[72:73], s[10:11], v[55:56]
	v_add_f64 v[27:28], v[29:30], v[19:20]
	v_add_f64 v[29:30], v[23:24], v[68:69]
	v_fma_f64 v[55:56], v[61:62], s[2:3], v[15:16]
	v_add_f64 v[72:73], v[31:32], -v[35:36]
	v_add_f64 v[78:79], v[23:24], -v[19:20]
	;; [unrolled: 1-line block ×3, first 2 shown]
	v_fma_f64 v[76:77], v[70:71], s[14:15], v[76:77]
	v_add_f64 v[13:14], v[13:14], v[17:18]
	v_fma_f64 v[74:75], v[74:75], s[6:7], v[37:38]
	v_fma_f64 v[17:18], v[29:30], -0.5, v[45:46]
	v_fma_f64 v[21:22], v[70:71], s[4:5], v[21:22]
	v_add_f64 v[27:28], v[27:28], v[33:34]
	v_fma_f64 v[29:30], v[72:73], s[4:5], v[55:56]
	v_add_f64 v[37:38], v[78:79], v[80:81]
	v_add_f64 v[45:46], v[31:32], v[35:36]
	v_fma_f64 v[55:56], v[13:14], s[6:7], v[76:77]
	v_add_f64 v[80:81], v[19:20], -v[33:34]
	v_fma_f64 v[70:71], v[72:73], s[10:11], v[17:18]
	v_fma_f64 v[76:77], v[13:14], s[6:7], v[21:22]
	v_add_f64 v[78:79], v[27:28], v[68:69]
	v_add_f64 v[13:14], v[25:26], v[41:42]
	v_fma_f64 v[21:22], v[37:38], s[6:7], v[29:30]
	v_fma_f64 v[27:28], v[45:46], -0.5, v[8:9]
	v_add_f64 v[29:30], v[23:24], -v[68:69]
	v_fma_f64 v[15:16], v[61:62], s[10:11], v[15:16]
	v_fma_f64 v[45:46], v[61:62], s[4:5], v[70:71]
	v_add_f64 v[70:71], v[8:9], v[25:26]
	v_fma_f64 v[17:18], v[72:73], s[2:3], v[17:18]
	v_fma_f64 v[8:9], v[13:14], -0.5, v[8:9]
	v_add_f64 v[13:14], v[19:20], -v[23:24]
	v_add_f64 v[19:20], v[33:34], -v[68:69]
	v_fma_f64 v[23:24], v[29:30], s[10:11], v[27:28]
	v_add_f64 v[33:34], v[25:26], -v[31:32]
	v_add_f64 v[68:69], v[41:42], -v[35:36]
	v_fma_f64 v[27:28], v[29:30], s[2:3], v[27:28]
	v_fma_f64 v[15:16], v[72:73], s[14:15], v[15:16]
	v_add_f64 v[70:71], v[70:71], v[31:32]
	v_fma_f64 v[72:73], v[80:81], s[2:3], v[8:9]
	v_add_f64 v[25:26], v[31:32], -v[25:26]
	v_fma_f64 v[23:24], v[80:81], s[14:15], v[23:24]
	v_add_f64 v[31:32], v[35:36], -v[41:42]
	v_add_f64 v[33:34], v[33:34], v[68:69]
	v_fma_f64 v[8:9], v[80:81], s[10:11], v[8:9]
	v_add_f64 v[13:14], v[13:14], v[19:20]
	v_fma_f64 v[17:18], v[61:62], s[14:15], v[17:18]
	v_fma_f64 v[27:28], v[80:81], s[4:5], v[27:28]
	;; [unrolled: 1-line block ×4, first 2 shown]
	v_add_f64 v[25:26], v[25:26], v[31:32]
	v_fma_f64 v[23:24], v[33:34], s[6:7], v[23:24]
	v_fma_f64 v[8:9], v[29:30], s[4:5], v[8:9]
	v_add_f64 v[31:32], v[70:71], v[35:36]
	v_fma_f64 v[35:36], v[13:14], s[6:7], v[17:18]
	v_fma_f64 v[17:18], v[33:34], s[6:7], v[27:28]
	;; [unrolled: 1-line block ×3, first 2 shown]
	v_mul_f64 v[33:34], v[15:16], s[16:17]
	v_fma_f64 v[19:20], v[25:26], s[6:7], v[19:20]
	v_mul_f64 v[27:28], v[23:24], s[4:5]
	v_fma_f64 v[8:9], v[25:26], s[6:7], v[8:9]
	v_add_f64 v[45:46], v[31:32], v[41:42]
	v_mul_f64 v[31:32], v[35:36], s[6:7]
	v_mul_f64 v[61:62], v[17:18], s[16:17]
	v_add_f64 v[13:14], v[39:40], v[78:79]
	v_fma_f64 v[70:71], v[17:18], s[4:5], -v[33:34]
	v_mul_f64 v[25:26], v[19:20], s[2:3]
	v_fma_f64 v[37:38], v[21:22], s[16:17], v[27:28]
	v_mul_f64 v[21:22], v[21:22], s[14:15]
	v_mul_f64 v[27:28], v[29:30], s[10:11]
	;; [unrolled: 1-line block ×3, first 2 shown]
	v_fma_f64 v[8:9], v[8:9], s[2:3], -v[31:32]
	v_fma_f64 v[61:62], v[15:16], s[14:15], -v[61:62]
	v_add_f64 v[15:16], v[43:44], v[45:46]
	v_fma_f64 v[68:69], v[29:30], s[6:7], v[25:26]
	v_add_f64 v[17:18], v[51:52], v[37:38]
	v_fma_f64 v[72:73], v[23:24], s[16:17], v[21:22]
	v_fma_f64 v[80:81], v[19:20], s[6:7], v[27:28]
	v_fma_f64 v[82:83], v[35:36], s[10:11], -v[41:42]
	v_add_f64 v[25:26], v[10:11], v[8:9]
	v_add_f64 v[29:30], v[59:60], v[70:71]
	;; [unrolled: 1-line block ×4, first 2 shown]
	v_add_f64 v[33:34], v[39:40], -v[78:79]
	v_add_f64 v[19:20], v[57:58], v[72:73]
	v_add_f64 v[23:24], v[55:56], v[80:81]
	;; [unrolled: 1-line block ×3, first 2 shown]
	v_add_f64 v[35:36], v[43:44], -v[45:46]
	v_add_f64 v[37:38], v[51:52], -v[37:38]
	;; [unrolled: 1-line block ×3, first 2 shown]
	v_mul_u32_u24_e32 v45, 0x28a0, v47
	v_add_f64 v[41:42], v[53:54], -v[68:69]
	v_add_f64 v[43:44], v[55:56], -v[80:81]
	v_add3_u32 v12, 0, v45, v12
	v_add_f64 v[51:52], v[10:11], -v[8:9]
	v_add_f64 v[8:9], v[59:60], -v[70:71]
	;; [unrolled: 1-line block ×4, first 2 shown]
	ds_write_b128 v12, v[13:16]
	ds_write_b128 v12, v[17:20] offset:1040
	ds_write_b128 v12, v[21:24] offset:2080
	;; [unrolled: 1-line block ×9, first 2 shown]
	s_waitcnt lgkmcnt(0)
	s_barrier
	ds_read_b128 v[12:15], v48
	ds_read_b128 v[16:19], v48 offset:3120
	ds_read_b128 v[24:27], v48 offset:20800
	;; [unrolled: 1-line block ×8, first 2 shown]
	s_movk_i32 s2, 0x41
	v_cmp_gt_u32_e64 s[2:3], s2, v64
	s_and_saveexec_b64 s[4:5], s[2:3]
	s_cbranch_execz .LBB0_15
; %bb.14:
	ds_read_b128 v[8:11], v48 offset:9360
	ds_read_b128 v[0:3], v48 offset:19760
	;; [unrolled: 1-line block ×3, first 2 shown]
.LBB0_15:
	s_or_b64 exec, exec, s[4:5]
	s_and_saveexec_b64 s[4:5], s[0:1]
	s_cbranch_execz .LBB0_18
; %bb.16:
	v_add_u32_e32 v92, 0x186, v64
	v_lshlrev_b32_e32 v48, 1, v92
	v_mov_b32_e32 v49, 0
	v_lshlrev_b64 v[51:52], 4, v[48:49]
	v_mov_b32_e32 v63, s9
	v_add_co_u32_e32 v48, vcc, s8, v51
	v_addc_co_u32_e32 v51, vcc, v63, v52, vcc
	s_movk_i32 s0, 0x27d0
	v_add_co_u32_e32 v59, vcc, s0, v48
	v_addc_co_u32_e32 v60, vcc, 0, v51, vcc
	s_movk_i32 s6, 0x2000
	v_add_co_u32_e32 v61, vcc, s6, v48
	v_addc_co_u32_e32 v62, vcc, 0, v51, vcc
	v_lshlrev_b32_e32 v48, 1, v50
	global_load_dwordx4 v[51:54], v[61:62], off offset:2000
	global_load_dwordx4 v[55:58], v[59:60], off offset:16
	v_lshlrev_b64 v[59:60], 4, v[48:49]
	s_mov_b32 s5, 0xbfebb67a
	v_add_co_u32_e32 v48, vcc, s8, v59
	v_addc_co_u32_e32 v50, vcc, v63, v60, vcc
	v_add_co_u32_e32 v72, vcc, s0, v48
	v_addc_co_u32_e32 v73, vcc, 0, v50, vcc
	;; [unrolled: 2-line block ×3, first 2 shown]
	v_lshlrev_b32_e32 v48, 1, v64
	global_load_dwordx4 v[59:62], v[74:75], off offset:2000
	global_load_dwordx4 v[68:71], v[72:73], off offset:16
	v_lshlrev_b64 v[72:73], 4, v[48:49]
	v_mov_b32_e32 v65, v49
	v_add_co_u32_e32 v48, vcc, s8, v72
	v_addc_co_u32_e32 v50, vcc, v63, v73, vcc
	v_add_co_u32_e32 v80, vcc, s0, v48
	v_addc_co_u32_e32 v81, vcc, 0, v50, vcc
	;; [unrolled: 2-line block ×3, first 2 shown]
	global_load_dwordx4 v[72:75], v[82:83], off offset:2000
	global_load_dwordx4 v[76:79], v[80:81], off offset:16
	s_mov_b32 s0, 0xe8584caa
	s_mov_b32 s1, 0x3febb67a
	;; [unrolled: 1-line block ×3, first 2 shown]
	s_movk_i32 s7, 0x5000
	s_mov_b32 s10, 0xc9a633fd
	s_waitcnt vmcnt(5) lgkmcnt(1)
	v_mul_f64 v[80:81], v[42:43], v[53:54]
	s_waitcnt vmcnt(4) lgkmcnt(0)
	v_mul_f64 v[82:83], v[46:47], v[57:58]
	v_mul_f64 v[53:54], v[40:41], v[53:54]
	;; [unrolled: 1-line block ×3, first 2 shown]
	v_fma_f64 v[40:41], v[40:41], v[51:52], -v[80:81]
	v_fma_f64 v[44:45], v[44:45], v[55:56], -v[82:83]
	v_fma_f64 v[42:43], v[42:43], v[51:52], v[53:54]
	v_fma_f64 v[46:47], v[46:47], v[55:56], v[57:58]
	s_waitcnt vmcnt(3)
	v_mul_f64 v[84:85], v[38:39], v[61:62]
	s_waitcnt vmcnt(2)
	v_mul_f64 v[86:87], v[34:35], v[70:71]
	v_mul_f64 v[61:62], v[36:37], v[61:62]
	;; [unrolled: 1-line block ×3, first 2 shown]
	v_add_f64 v[50:51], v[40:41], -v[44:45]
	v_add_f64 v[52:53], v[42:43], v[46:47]
	v_add_f64 v[54:55], v[22:23], v[42:43]
	;; [unrolled: 1-line block ×3, first 2 shown]
	v_fma_f64 v[36:37], v[36:37], v[59:60], -v[84:85]
	v_fma_f64 v[32:33], v[32:33], v[68:69], -v[86:87]
	v_fma_f64 v[38:39], v[38:39], v[59:60], v[61:62]
	v_fma_f64 v[34:35], v[34:35], v[68:69], v[70:71]
	v_add_f64 v[40:41], v[20:21], v[40:41]
	v_add_f64 v[42:43], v[42:43], -v[46:47]
	s_waitcnt vmcnt(1)
	v_mul_f64 v[88:89], v[30:31], v[74:75]
	s_waitcnt vmcnt(0)
	v_mul_f64 v[90:91], v[26:27], v[78:79]
	v_mul_f64 v[74:75], v[28:29], v[74:75]
	;; [unrolled: 1-line block ×3, first 2 shown]
	v_add_f64 v[60:61], v[38:39], v[34:35]
	v_add_f64 v[68:69], v[36:37], v[32:33]
	;; [unrolled: 1-line block ×3, first 2 shown]
	v_add_f64 v[70:71], v[38:39], -v[34:35]
	v_fma_f64 v[28:29], v[28:29], v[72:73], -v[88:89]
	v_fma_f64 v[24:25], v[24:25], v[76:77], -v[90:91]
	v_fma_f64 v[30:31], v[30:31], v[72:73], v[74:75]
	v_fma_f64 v[26:27], v[26:27], v[76:77], v[78:79]
	v_add_f64 v[58:59], v[36:37], -v[32:33]
	v_add_f64 v[36:37], v[16:17], v[36:37]
	v_add_f64 v[80:81], v[12:13], v[28:29]
	;; [unrolled: 1-line block ×5, first 2 shown]
	v_add_f64 v[72:73], v[28:29], -v[24:25]
	v_add_f64 v[78:79], v[30:31], -v[26:27]
	v_fma_f64 v[28:29], v[52:53], -0.5, v[22:23]
	v_add_f64 v[22:23], v[54:55], v[46:47]
	v_fma_f64 v[46:47], v[56:57], -0.5, v[20:21]
	v_add_f64 v[20:21], v[40:41], v[44:45]
	v_fma_f64 v[40:41], v[60:61], -0.5, v[18:19]
	v_fma_f64 v[44:45], v[68:69], -0.5, v[16:17]
	;; [unrolled: 1-line block ×4, first 2 shown]
	v_add_f64 v[26:27], v[74:75], v[26:27]
	v_add_f64 v[24:25], v[80:81], v[24:25]
	;; [unrolled: 1-line block ×4, first 2 shown]
	v_fma_f64 v[30:31], v[50:51], s[0:1], v[28:29]
	v_fma_f64 v[34:35], v[50:51], s[4:5], v[28:29]
	;; [unrolled: 1-line block ×10, first 2 shown]
	v_mov_b32_e32 v12, s13
	v_add_co_u32_e32 v54, vcc, s12, v66
	v_fma_f64 v[46:47], v[72:73], s[0:1], v[14:15]
	v_fma_f64 v[52:53], v[72:73], s[4:5], v[14:15]
	v_addc_co_u32_e32 v55, vcc, v12, v67, vcc
	v_lshlrev_b64 v[12:13], 4, v[64:65]
	v_add_co_u32_e32 v12, vcc, v54, v12
	v_addc_co_u32_e32 v13, vcc, v55, v13, vcc
	v_add_co_u32_e32 v14, vcc, s6, v12
	v_addc_co_u32_e32 v15, vcc, 0, v13, vcc
	global_store_dwordx4 v[12:13], v[24:27], off
	global_store_dwordx4 v[14:15], v[50:53], off offset:2208
	v_add_co_u32_e32 v24, vcc, s7, v12
	v_addc_co_u32_e32 v25, vcc, 0, v13, vcc
	global_store_dwordx4 v[24:25], v[44:47], off offset:320
	global_store_dwordx4 v[12:13], v[16:19], off offset:3120
	s_movk_i32 s7, 0x3000
	v_mul_hi_u32 v18, v92, s10
	v_add_co_u32_e32 v16, vcc, s7, v12
	v_addc_co_u32_e32 v17, vcc, 0, v13, vcc
	global_store_dwordx4 v[16:17], v[40:43], off offset:1232
	global_store_dwordx4 v[24:25], v[36:39], off offset:3440
	v_lshrrev_b32_e32 v16, 9, v18
	s_movk_i32 s7, 0x514
	v_mad_u32_u24 v48, v16, s7, v92
	v_lshlrev_b64 v[16:17], 4, v[48:49]
	v_add_co_u32_e32 v16, vcc, v54, v16
	v_addc_co_u32_e32 v17, vcc, v55, v17, vcc
	v_add_co_u32_e32 v18, vcc, 0x2000, v16
	v_addc_co_u32_e32 v19, vcc, 0, v17, vcc
	global_store_dwordx4 v[16:17], v[20:23], off
	v_add_co_u32_e32 v16, vcc, 0x5000, v16
	v_addc_co_u32_e32 v17, vcc, 0, v17, vcc
	global_store_dwordx4 v[18:19], v[32:35], off offset:2208
	global_store_dwordx4 v[16:17], v[28:31], off offset:320
	s_and_b64 exec, exec, s[2:3]
	s_cbranch_execz .LBB0_18
; %bb.17:
	v_not_b32_e32 v16, 64
	v_mov_b32_e32 v17, 0x249
	v_cndmask_b32_e64 v16, v16, v17, s[2:3]
	v_add_lshl_u32 v48, v64, v16, 1
	v_lshlrev_b64 v[16:17], 4, v[48:49]
	v_mov_b32_e32 v18, s9
	v_add_co_u32_e32 v16, vcc, s8, v16
	v_addc_co_u32_e32 v17, vcc, v18, v17, vcc
	v_add_co_u32_e32 v24, vcc, 0x27d0, v16
	v_addc_co_u32_e32 v25, vcc, 0, v17, vcc
	;; [unrolled: 2-line block ×3, first 2 shown]
	global_load_dwordx4 v[16:19], v[26:27], off offset:2000
	global_load_dwordx4 v[20:23], v[24:25], off offset:16
	s_waitcnt vmcnt(1)
	v_mul_f64 v[24:25], v[2:3], v[18:19]
	s_waitcnt vmcnt(0)
	v_mul_f64 v[26:27], v[6:7], v[22:23]
	v_mul_f64 v[18:19], v[0:1], v[18:19]
	;; [unrolled: 1-line block ×3, first 2 shown]
	v_fma_f64 v[0:1], v[0:1], v[16:17], -v[24:25]
	v_fma_f64 v[4:5], v[4:5], v[20:21], -v[26:27]
	v_fma_f64 v[2:3], v[2:3], v[16:17], v[18:19]
	v_fma_f64 v[6:7], v[6:7], v[20:21], v[22:23]
	v_add_co_u32_e32 v20, vcc, 0x4000, v12
	v_addc_co_u32_e32 v21, vcc, 0, v13, vcc
	v_add_f64 v[22:23], v[8:9], v[0:1]
	v_add_f64 v[16:17], v[0:1], v[4:5]
	v_add_co_u32_e32 v12, vcc, 0x7000, v12
	v_add_f64 v[18:19], v[2:3], v[6:7]
	v_add_f64 v[24:25], v[2:3], -v[6:7]
	v_add_f64 v[2:3], v[10:11], v[2:3]
	v_addc_co_u32_e32 v13, vcc, 0, v13, vcc
	v_fma_f64 v[8:9], v[16:17], -0.5, v[8:9]
	v_add_f64 v[16:17], v[0:1], -v[4:5]
	v_add_f64 v[0:1], v[22:23], v[4:5]
	v_fma_f64 v[10:11], v[18:19], -0.5, v[10:11]
	v_add_f64 v[2:3], v[2:3], v[6:7]
	v_fma_f64 v[4:5], v[24:25], s[0:1], v[8:9]
	v_fma_f64 v[8:9], v[24:25], s[4:5], v[8:9]
	;; [unrolled: 1-line block ×4, first 2 shown]
	global_store_dwordx4 v[14:15], v[0:3], off offset:1168
	global_store_dwordx4 v[20:21], v[4:7], off offset:3376
	;; [unrolled: 1-line block ×3, first 2 shown]
.LBB0_18:
	s_endpgm
	.section	.rodata,"a",@progbits
	.p2align	6, 0x0
	.amdhsa_kernel fft_rtc_fwd_len1950_factors_13_5_10_3_wgs_195_tpt_195_dp_ip_CI_unitstride_sbrr_dirReg
		.amdhsa_group_segment_fixed_size 0
		.amdhsa_private_segment_fixed_size 0
		.amdhsa_kernarg_size 88
		.amdhsa_user_sgpr_count 6
		.amdhsa_user_sgpr_private_segment_buffer 1
		.amdhsa_user_sgpr_dispatch_ptr 0
		.amdhsa_user_sgpr_queue_ptr 0
		.amdhsa_user_sgpr_kernarg_segment_ptr 1
		.amdhsa_user_sgpr_dispatch_id 0
		.amdhsa_user_sgpr_flat_scratch_init 0
		.amdhsa_user_sgpr_private_segment_size 0
		.amdhsa_uses_dynamic_stack 0
		.amdhsa_system_sgpr_private_segment_wavefront_offset 0
		.amdhsa_system_sgpr_workgroup_id_x 1
		.amdhsa_system_sgpr_workgroup_id_y 0
		.amdhsa_system_sgpr_workgroup_id_z 0
		.amdhsa_system_sgpr_workgroup_info 0
		.amdhsa_system_vgpr_workitem_id 0
		.amdhsa_next_free_vgpr 254
		.amdhsa_next_free_sgpr 42
		.amdhsa_reserve_vcc 1
		.amdhsa_reserve_flat_scratch 0
		.amdhsa_float_round_mode_32 0
		.amdhsa_float_round_mode_16_64 0
		.amdhsa_float_denorm_mode_32 3
		.amdhsa_float_denorm_mode_16_64 3
		.amdhsa_dx10_clamp 1
		.amdhsa_ieee_mode 1
		.amdhsa_fp16_overflow 0
		.amdhsa_exception_fp_ieee_invalid_op 0
		.amdhsa_exception_fp_denorm_src 0
		.amdhsa_exception_fp_ieee_div_zero 0
		.amdhsa_exception_fp_ieee_overflow 0
		.amdhsa_exception_fp_ieee_underflow 0
		.amdhsa_exception_fp_ieee_inexact 0
		.amdhsa_exception_int_div_zero 0
	.end_amdhsa_kernel
	.text
.Lfunc_end0:
	.size	fft_rtc_fwd_len1950_factors_13_5_10_3_wgs_195_tpt_195_dp_ip_CI_unitstride_sbrr_dirReg, .Lfunc_end0-fft_rtc_fwd_len1950_factors_13_5_10_3_wgs_195_tpt_195_dp_ip_CI_unitstride_sbrr_dirReg
                                        ; -- End function
	.section	.AMDGPU.csdata,"",@progbits
; Kernel info:
; codeLenInByte = 10044
; NumSgprs: 46
; NumVgprs: 254
; ScratchSize: 0
; MemoryBound: 1
; FloatMode: 240
; IeeeMode: 1
; LDSByteSize: 0 bytes/workgroup (compile time only)
; SGPRBlocks: 5
; VGPRBlocks: 63
; NumSGPRsForWavesPerEU: 46
; NumVGPRsForWavesPerEU: 254
; Occupancy: 1
; WaveLimiterHint : 1
; COMPUTE_PGM_RSRC2:SCRATCH_EN: 0
; COMPUTE_PGM_RSRC2:USER_SGPR: 6
; COMPUTE_PGM_RSRC2:TRAP_HANDLER: 0
; COMPUTE_PGM_RSRC2:TGID_X_EN: 1
; COMPUTE_PGM_RSRC2:TGID_Y_EN: 0
; COMPUTE_PGM_RSRC2:TGID_Z_EN: 0
; COMPUTE_PGM_RSRC2:TIDIG_COMP_CNT: 0
	.type	__hip_cuid_1bc424a450b84abf,@object ; @__hip_cuid_1bc424a450b84abf
	.section	.bss,"aw",@nobits
	.globl	__hip_cuid_1bc424a450b84abf
__hip_cuid_1bc424a450b84abf:
	.byte	0                               ; 0x0
	.size	__hip_cuid_1bc424a450b84abf, 1

	.ident	"AMD clang version 19.0.0git (https://github.com/RadeonOpenCompute/llvm-project roc-6.4.0 25133 c7fe45cf4b819c5991fe208aaa96edf142730f1d)"
	.section	".note.GNU-stack","",@progbits
	.addrsig
	.addrsig_sym __hip_cuid_1bc424a450b84abf
	.amdgpu_metadata
---
amdhsa.kernels:
  - .args:
      - .actual_access:  read_only
        .address_space:  global
        .offset:         0
        .size:           8
        .value_kind:     global_buffer
      - .offset:         8
        .size:           8
        .value_kind:     by_value
      - .actual_access:  read_only
        .address_space:  global
        .offset:         16
        .size:           8
        .value_kind:     global_buffer
      - .actual_access:  read_only
        .address_space:  global
        .offset:         24
        .size:           8
        .value_kind:     global_buffer
      - .offset:         32
        .size:           8
        .value_kind:     by_value
      - .actual_access:  read_only
        .address_space:  global
        .offset:         40
        .size:           8
        .value_kind:     global_buffer
      - .actual_access:  read_only
        .address_space:  global
        .offset:         48
        .size:           8
        .value_kind:     global_buffer
      - .offset:         56
        .size:           4
        .value_kind:     by_value
      - .actual_access:  read_only
        .address_space:  global
        .offset:         64
        .size:           8
        .value_kind:     global_buffer
      - .actual_access:  read_only
        .address_space:  global
        .offset:         72
        .size:           8
        .value_kind:     global_buffer
      - .address_space:  global
        .offset:         80
        .size:           8
        .value_kind:     global_buffer
    .group_segment_fixed_size: 0
    .kernarg_segment_align: 8
    .kernarg_segment_size: 88
    .language:       OpenCL C
    .language_version:
      - 2
      - 0
    .max_flat_workgroup_size: 195
    .name:           fft_rtc_fwd_len1950_factors_13_5_10_3_wgs_195_tpt_195_dp_ip_CI_unitstride_sbrr_dirReg
    .private_segment_fixed_size: 0
    .sgpr_count:     46
    .sgpr_spill_count: 0
    .symbol:         fft_rtc_fwd_len1950_factors_13_5_10_3_wgs_195_tpt_195_dp_ip_CI_unitstride_sbrr_dirReg.kd
    .uniform_work_group_size: 1
    .uses_dynamic_stack: false
    .vgpr_count:     254
    .vgpr_spill_count: 0
    .wavefront_size: 64
amdhsa.target:   amdgcn-amd-amdhsa--gfx906
amdhsa.version:
  - 1
  - 2
...

	.end_amdgpu_metadata
